;; amdgpu-corpus repo=zjin-lcf/HeCBench kind=compiled arch=gfx1030 opt=O3
	.amdgcn_target "amdgcn-amd-amdhsa--gfx1030"
	.amdhsa_code_object_version 6
	.text
	.protected	_Z13render_kernelPhPK7_Sphere6_Planeiii ; -- Begin function _Z13render_kernelPhPK7_Sphere6_Planeiii
	.globl	_Z13render_kernelPhPK7_Sphere6_Planeiii
	.p2align	8
	.type	_Z13render_kernelPhPK7_Sphere6_Planeiii,@function
_Z13render_kernelPhPK7_Sphere6_Planeiii: ; @_Z13render_kernelPhPK7_Sphere6_Planeiii
; %bb.0:
	s_clause 0x1
	s_load_dword s0, s[4:5], 0x44
	s_load_dwordx8 s[8:15], s[4:5], 0x10
	s_waitcnt lgkmcnt(0)
	s_lshr_b32 s1, s0, 16
	s_and_b32 s0, s0, 0xffff
	v_mad_u64_u32 v[2:3], null, s7, s1, v[1:2]
	v_mad_u64_u32 v[3:4], null, s6, s0, v[0:1]
	v_cmp_gt_i32_e32 vcc_lo, s14, v2
	v_cmp_gt_i32_e64 s0, s15, v3
	s_and_b32 s0, s0, vcc_lo
	s_and_saveexec_b32 s1, s0
	s_cbranch_execz .LBB0_64
; %bb.1:
	s_clause 0x1
	s_load_dword s2, s[4:5], 0x30
	s_load_dwordx4 s[4:7], s[4:5], 0x0
	v_mad_u64_u32 v[0:1], null, v2, s15, v[3:4]
	s_waitcnt lgkmcnt(0)
	s_cmp_lt_i32 s2, 1
	s_cbranch_scc1 .LBB0_62
; %bb.2:
	s_clause 0x1
	s_load_dwordx8 s[16:23], s[6:7], 0x0
	s_load_dwordx4 s[24:27], s[6:7], 0x20
	v_mul_f32_e64 v6, s9, s12
	v_mul_f32_e64 v1, s12, 0
	v_cvt_f32_i32_e32 v7, v3
	v_cvt_f32_i32_e32 v3, s15
	;; [unrolled: 1-line block ×3, first 2 shown]
	v_fmac_f32_e64 v6, s8, s11
	v_fmac_f32_e64 v1, s11, 0
	v_cvt_f32_i32_e32 v4, s14
	v_mul_f32_e32 v10, 0.5, v3
	v_cvt_f32_u32_e32 v8, s2
	v_fmac_f32_e64 v6, s10, s13
	v_fmac_f32_e64 v1, s13, 0
	v_mul_f32_e32 v11, 0.5, v4
	v_mov_b32_e32 v5, 0
	v_mov_b32_e32 v4, 0
	;; [unrolled: 1-line block ×3, first 2 shown]
	v_sub_f32_e32 v12, v1, v6
	s_mov_b32 s3, 0
	s_waitcnt lgkmcnt(0)
	v_sub_f32_e64 v13, 0, s16
	v_mul_f32_e64 v1, -s17, -s17
	v_sub_f32_e64 v15, 0, s20
	v_mul_f32_e64 v2, -s21, -s21
	;; [unrolled: 2-line block ×3, first 2 shown]
	v_sub_f32_e64 v14, 0, s18
	v_sub_f32_e64 v17, 0, s22
	v_fmac_f32_e32 v1, v13, v13
	v_fmac_f32_e32 v2, v15, v15
	v_sub_f32_e64 v18, 0, s26
	v_fmac_f32_e32 v3, v16, v16
	v_sub_f32_e64 v19, 0, s17
	v_fmac_f32_e32 v1, v14, v14
	v_fmac_f32_e32 v2, v17, v17
	v_mul_f32_e64 v20, s19, s19
	v_fmac_f32_e32 v3, v18, v18
	v_sub_f32_e64 v21, 0, s21
	v_fma_f32 v22, s19, s19, -v1
	v_fma_f32 v23, s23, s23, -v2
	v_sub_f32_e64 v24, 0, s25
	v_fma_f32 v25, s27, s27, -v3
	v_mov_b32_e32 v3, 0
	v_mov_b32_e32 v2, 0
	s_mov_b32 s8, 0x800000
	s_mov_b32 s9, 0xb94c1982
	;; [unrolled: 1-line block ×3, first 2 shown]
                                        ; implicit-def: $vgpr28
                                        ; implicit-def: $vgpr27
                                        ; implicit-def: $vgpr29
                                        ; implicit-def: $vgpr31
                                        ; implicit-def: $vgpr30
                                        ; implicit-def: $vgpr32
	s_branch .LBB0_4
.LBB0_3:                                ;   in Loop: Header=BB0_4 Depth=1
	s_add_i32 s3, s3, 1
	s_cmp_eq_u32 s3, s2
	s_cbranch_scc1 .LBB0_63
.LBB0_4:                                ; =>This Loop Header: Depth=1
                                        ;     Child Loop BB0_7 Depth 2
                                        ;       Child Loop BB0_44 Depth 3
                                        ;         Child Loop BB0_46 Depth 4
	v_cvt_f32_u32_e32 v1, s3
	s_mov_b32 s14, 0
	v_div_scale_f32 v33, null, v8, v8, v1
	v_div_scale_f32 v36, vcc_lo, v1, v8, v1
	v_rcp_f32_e32 v34, v33
	v_fma_f32 v35, -v33, v34, 1.0
	v_fmac_f32_e32 v34, v35, v34
	v_mul_f32_e32 v35, v36, v34
	v_fma_f32 v37, -v33, v35, v36
	v_fmac_f32_e32 v35, v37, v34
	v_fma_f32 v33, -v33, v35, v36
	v_div_fmas_f32 v33, v33, v34, v35
	v_div_fixup_f32 v1, v33, v8, v1
	v_add_f32_e32 v1, v1, v9
	v_sub_f32_e32 v1, v1, v11
	v_div_scale_f32 v33, null, v11, v11, -v1
	v_rcp_f32_e32 v34, v33
	v_fma_f32 v35, -v33, v34, 1.0
	v_fmac_f32_e32 v34, v35, v34
	v_div_scale_f32 v35, vcc_lo, -v1, v11, -v1
	v_mul_f32_e32 v36, v35, v34
	v_fma_f32 v37, -v33, v36, v35
	v_fmac_f32_e32 v36, v37, v34
	v_fma_f32 v33, -v33, v36, v35
	v_div_fmas_f32 v33, v33, v34, v36
	v_div_fixup_f32 v33, v33, v11, -v1
	v_mul_f32_e32 v34, v33, v33
	s_branch .LBB0_7
.LBB0_5:                                ;   in Loop: Header=BB0_7 Depth=2
	v_sub_f32_e32 v1, 0x42800000, v53
	v_fmac_f32_e32 v3, 0x3c800000, v1
	v_fmac_f32_e32 v5, 0x3c800000, v1
	;; [unrolled: 1-line block ×3, first 2 shown]
.LBB0_6:                                ;   in Loop: Header=BB0_7 Depth=2
	s_or_b32 exec_lo, exec_lo, s15
	s_add_i32 s14, s14, 1
	s_cmp_eq_u32 s14, s2
	s_cbranch_scc1 .LBB0_3
.LBB0_7:                                ;   Parent Loop BB0_4 Depth=1
                                        ; =>  This Loop Header: Depth=2
                                        ;       Child Loop BB0_44 Depth 3
                                        ;         Child Loop BB0_46 Depth 4
	v_cvt_f32_u32_e32 v1, s14
	s_mov_b32 s15, exec_lo
	v_div_scale_f32 v35, null, v8, v8, v1
	v_div_scale_f32 v38, vcc_lo, v1, v8, v1
	v_rcp_f32_e32 v36, v35
	v_fma_f32 v37, -v35, v36, 1.0
	v_fmac_f32_e32 v36, v37, v36
	v_mul_f32_e32 v37, v38, v36
	v_fma_f32 v39, -v35, v37, v38
	v_fmac_f32_e32 v37, v39, v36
	v_fma_f32 v35, -v35, v37, v38
	v_div_fmas_f32 v35, v35, v36, v37
	v_div_fixup_f32 v1, v35, v8, v1
	v_add_f32_e32 v1, v1, v7
	v_sub_f32_e32 v1, v1, v10
	v_div_scale_f32 v35, null, v10, v10, v1
	v_div_scale_f32 v38, vcc_lo, v1, v10, v1
	v_rcp_f32_e32 v36, v35
	v_fma_f32 v37, -v35, v36, 1.0
	v_fmac_f32_e32 v36, v37, v36
	v_mul_f32_e32 v37, v38, v36
	v_fma_f32 v39, -v35, v37, v38
	v_fmac_f32_e32 v37, v39, v36
	v_fma_f32 v35, -v35, v37, v38
	v_div_fmas_f32 v35, v35, v36, v37
	v_div_fixup_f32 v1, v35, v10, v1
	v_fma_f32 v35, v1, v1, v34
	v_add_f32_e32 v35, 1.0, v35
	v_mul_f32_e32 v36, 0x4f800000, v35
	v_cmp_gt_f32_e32 vcc_lo, 0xf800000, v35
	v_cndmask_b32_e32 v35, v35, v36, vcc_lo
	v_sqrt_f32_e32 v36, v35
	v_add_nc_u32_e32 v37, -1, v36
	v_add_nc_u32_e32 v38, 1, v36
	v_fma_f32 v39, -v37, v36, v35
	v_fma_f32 v40, -v38, v36, v35
	v_cmp_ge_f32_e64 s0, 0, v39
	v_cndmask_b32_e64 v36, v36, v37, s0
	v_cmp_lt_f32_e64 s0, 0, v40
	v_cndmask_b32_e64 v36, v36, v38, s0
	v_mul_f32_e32 v37, 0x37800000, v36
	v_cndmask_b32_e32 v36, v36, v37, vcc_lo
	v_cmp_class_f32_e64 vcc_lo, v35, 0x260
	v_cndmask_b32_e32 v37, v36, v35, vcc_lo
	v_mov_b32_e32 v35, -1.0
	v_mov_b32_e32 v36, v33
	v_cmpx_lt_f32_e64 0x233877aa, |v37|
	s_cbranch_execz .LBB0_9
; %bb.8:                                ;   in Loop: Header=BB0_7 Depth=2
	v_div_scale_f32 v35, null, v37, v37, v1
	v_div_scale_f32 v36, null, v37, v37, v33
	v_div_scale_f32 v38, null, v37, v37, -1.0
	v_rcp_f32_e32 v39, v35
	v_rcp_f32_e32 v40, v36
	v_div_scale_f32 v42, vcc_lo, v1, v37, v1
	v_rcp_f32_e32 v41, v38
	v_div_scale_f32 v43, s0, v33, v37, v33
	v_div_scale_f32 v47, s1, -1.0, v37, -1.0
	v_fma_f32 v44, -v35, v39, 1.0
	v_fma_f32 v45, -v36, v40, 1.0
	;; [unrolled: 1-line block ×3, first 2 shown]
	v_fmac_f32_e32 v39, v44, v39
	v_fmac_f32_e32 v40, v45, v40
	;; [unrolled: 1-line block ×3, first 2 shown]
	v_mul_f32_e32 v44, v42, v39
	v_mul_f32_e32 v45, v43, v40
	;; [unrolled: 1-line block ×3, first 2 shown]
	v_fma_f32 v48, -v35, v44, v42
	v_fma_f32 v49, -v36, v45, v43
	;; [unrolled: 1-line block ×3, first 2 shown]
	v_fmac_f32_e32 v44, v48, v39
	v_fmac_f32_e32 v45, v49, v40
	;; [unrolled: 1-line block ×3, first 2 shown]
	v_fma_f32 v35, -v35, v44, v42
	v_fma_f32 v36, -v36, v45, v43
	;; [unrolled: 1-line block ×3, first 2 shown]
	v_div_fmas_f32 v35, v35, v39, v44
	s_mov_b32 vcc_lo, s0
	v_div_fmas_f32 v36, v36, v40, v45
	s_mov_b32 vcc_lo, s1
	v_div_fixup_f32 v1, v35, v37, v1
	v_div_fmas_f32 v38, v38, v41, v46
	v_div_fixup_f32 v36, v36, v37, v33
	v_div_fixup_f32 v35, v38, v37, -1.0
.LBB0_9:                                ;   in Loop: Header=BB0_7 Depth=2
	s_or_b32 exec_lo, exec_lo, s15
	v_mul_f32_e32 v39, v36, v19
	v_mov_b32_e32 v38, 0x5bb1a2bc
	v_mov_b32_e32 v37, 0
	s_mov_b32 s15, exec_lo
	v_fmac_f32_e32 v39, v1, v13
	v_fmac_f32_e32 v39, v35, v14
	v_fma_f32 v40, v39, v39, v22
	v_cmpx_lt_f32_e32 0, v40
	s_cbranch_execz .LBB0_15
; %bb.10:                               ;   in Loop: Header=BB0_7 Depth=2
	v_mul_f32_e32 v37, 0x4f800000, v40
	v_cmp_gt_f32_e32 vcc_lo, 0xf800000, v40
	v_cndmask_b32_e32 v37, v40, v37, vcc_lo
	v_sqrt_f32_e32 v38, v37
	v_add_nc_u32_e32 v40, -1, v38
	v_add_nc_u32_e32 v41, 1, v38
	v_fma_f32 v42, -v40, v38, v37
	v_fma_f32 v43, -v41, v38, v37
	v_cmp_ge_f32_e64 s0, 0, v42
	v_cndmask_b32_e64 v38, v38, v40, s0
	v_cmp_lt_f32_e64 s0, 0, v43
	v_cndmask_b32_e64 v38, v38, v41, s0
	v_mul_f32_e32 v40, 0x37800000, v38
	v_cndmask_b32_e32 v38, v38, v40, vcc_lo
	v_cmp_class_f32_e64 vcc_lo, v37, 0x260
	v_cndmask_b32_e32 v37, v38, v37, vcc_lo
	v_mov_b32_e32 v38, 0x5bb1a2bc
	v_sub_f32_e64 v39, -v39, v37
	v_mov_b32_e32 v37, 0
	v_cmp_lt_f32_e32 vcc_lo, 0, v39
	v_cmp_gt_f32_e64 s0, 0x5bb1a2bc, v39
	s_and_b32 s0, vcc_lo, s0
	s_and_saveexec_b32 s19, s0
	s_cbranch_execz .LBB0_14
; %bb.11:                               ;   in Loop: Header=BB0_7 Depth=2
	v_fma_f32 v27, v36, v39, 0
	v_fma_f32 v28, v1, v39, 0
	;; [unrolled: 1-line block ×3, first 2 shown]
	s_mov_b32 s23, exec_lo
	v_subrev_f32_e32 v30, s17, v27
	v_subrev_f32_e32 v31, s16, v28
	;; [unrolled: 1-line block ×3, first 2 shown]
	v_mul_f32_e32 v37, v30, v30
	v_fmac_f32_e32 v37, v31, v31
	v_fmac_f32_e32 v37, v32, v32
	v_mul_f32_e32 v38, 0x4f800000, v37
	v_cmp_gt_f32_e32 vcc_lo, 0xf800000, v37
	v_cndmask_b32_e32 v37, v37, v38, vcc_lo
	v_sqrt_f32_e32 v38, v37
	v_add_nc_u32_e32 v40, -1, v38
	v_add_nc_u32_e32 v41, 1, v38
	v_fma_f32 v42, -v40, v38, v37
	v_fma_f32 v43, -v41, v38, v37
	v_cmp_ge_f32_e64 s0, 0, v42
	v_cndmask_b32_e64 v38, v38, v40, s0
	v_cmp_lt_f32_e64 s0, 0, v43
	v_cndmask_b32_e64 v38, v38, v41, s0
	v_mul_f32_e32 v40, 0x37800000, v38
	v_cndmask_b32_e32 v38, v38, v40, vcc_lo
	v_cmp_class_f32_e64 vcc_lo, v37, 0x260
	v_cndmask_b32_e32 v37, v38, v37, vcc_lo
	v_cmpx_lt_f32_e64 0x233877aa, |v37|
	s_cbranch_execz .LBB0_13
; %bb.12:                               ;   in Loop: Header=BB0_7 Depth=2
	v_div_scale_f32 v38, null, v37, v37, v31
	v_div_scale_f32 v40, null, v37, v37, v30
	;; [unrolled: 1-line block ×3, first 2 shown]
	v_rcp_f32_e32 v42, v38
	v_rcp_f32_e32 v43, v40
	v_div_scale_f32 v45, vcc_lo, v31, v37, v31
	v_rcp_f32_e32 v44, v41
	v_div_scale_f32 v46, s0, v30, v37, v30
	v_div_scale_f32 v50, s1, v32, v37, v32
	v_fma_f32 v47, -v38, v42, 1.0
	v_fma_f32 v48, -v40, v43, 1.0
	;; [unrolled: 1-line block ×3, first 2 shown]
	v_fmac_f32_e32 v42, v47, v42
	v_fmac_f32_e32 v43, v48, v43
	v_fmac_f32_e32 v44, v49, v44
	v_mul_f32_e32 v47, v45, v42
	v_mul_f32_e32 v48, v46, v43
	;; [unrolled: 1-line block ×3, first 2 shown]
	v_fma_f32 v51, -v38, v47, v45
	v_fma_f32 v52, -v40, v48, v46
	;; [unrolled: 1-line block ×3, first 2 shown]
	v_fmac_f32_e32 v47, v51, v42
	v_fmac_f32_e32 v48, v52, v43
	;; [unrolled: 1-line block ×3, first 2 shown]
	v_fma_f32 v38, -v38, v47, v45
	v_fma_f32 v40, -v40, v48, v46
	;; [unrolled: 1-line block ×3, first 2 shown]
	v_div_fmas_f32 v38, v38, v42, v47
	s_mov_b32 vcc_lo, s0
	v_div_fmas_f32 v40, v40, v43, v48
	s_mov_b32 vcc_lo, s1
	v_div_fixup_f32 v31, v38, v37, v31
	v_div_fmas_f32 v41, v41, v44, v49
	v_div_fixup_f32 v30, v40, v37, v30
	v_div_fixup_f32 v32, v41, v37, v32
.LBB0_13:                               ;   in Loop: Header=BB0_7 Depth=2
	s_or_b32 exec_lo, exec_lo, s23
	v_mov_b32_e32 v37, 1
	v_mov_b32_e32 v38, v39
.LBB0_14:                               ;   in Loop: Header=BB0_7 Depth=2
	s_or_b32 exec_lo, exec_lo, s19
.LBB0_15:                               ;   in Loop: Header=BB0_7 Depth=2
	s_or_b32 exec_lo, exec_lo, s15
	v_mul_f32_e32 v39, v36, v21
	s_mov_b32 s15, exec_lo
	v_fmac_f32_e32 v39, v1, v15
	v_fmac_f32_e32 v39, v35, v17
	v_fma_f32 v40, v39, v39, v23
	v_cmpx_lt_f32_e32 0, v40
	s_cbranch_execz .LBB0_21
; %bb.16:                               ;   in Loop: Header=BB0_7 Depth=2
	v_mul_f32_e32 v41, 0x4f800000, v40
	v_cmp_gt_f32_e32 vcc_lo, 0xf800000, v40
	v_cndmask_b32_e32 v40, v40, v41, vcc_lo
	v_sqrt_f32_e32 v41, v40
	v_add_nc_u32_e32 v42, -1, v41
	v_add_nc_u32_e32 v43, 1, v41
	v_fma_f32 v44, -v42, v41, v40
	v_fma_f32 v45, -v43, v41, v40
	v_cmp_ge_f32_e64 s0, 0, v44
	v_cndmask_b32_e64 v41, v41, v42, s0
	v_cmp_lt_f32_e64 s0, 0, v45
	v_cndmask_b32_e64 v41, v41, v43, s0
	v_mul_f32_e32 v42, 0x37800000, v41
	v_cndmask_b32_e32 v41, v41, v42, vcc_lo
	v_cmp_class_f32_e64 vcc_lo, v40, 0x260
	v_cndmask_b32_e32 v40, v41, v40, vcc_lo
	v_sub_f32_e64 v39, -v39, v40
	v_cmp_lt_f32_e32 vcc_lo, 0, v39
	v_cmp_lt_f32_e64 s0, v39, v38
	s_and_b32 s0, vcc_lo, s0
	s_and_saveexec_b32 s19, s0
	s_cbranch_execz .LBB0_20
; %bb.17:                               ;   in Loop: Header=BB0_7 Depth=2
	v_fma_f32 v27, v36, v39, 0
	v_fma_f32 v28, v1, v39, 0
	;; [unrolled: 1-line block ×3, first 2 shown]
	s_mov_b32 s23, exec_lo
	v_subrev_f32_e32 v30, s21, v27
	v_subrev_f32_e32 v31, s20, v28
	;; [unrolled: 1-line block ×3, first 2 shown]
	v_mul_f32_e32 v37, v30, v30
	v_fmac_f32_e32 v37, v31, v31
	v_fmac_f32_e32 v37, v32, v32
	v_mul_f32_e32 v38, 0x4f800000, v37
	v_cmp_gt_f32_e32 vcc_lo, 0xf800000, v37
	v_cndmask_b32_e32 v37, v37, v38, vcc_lo
	v_sqrt_f32_e32 v38, v37
	v_add_nc_u32_e32 v40, -1, v38
	v_add_nc_u32_e32 v41, 1, v38
	v_fma_f32 v42, -v40, v38, v37
	v_fma_f32 v43, -v41, v38, v37
	v_cmp_ge_f32_e64 s0, 0, v42
	v_cndmask_b32_e64 v38, v38, v40, s0
	v_cmp_lt_f32_e64 s0, 0, v43
	v_cndmask_b32_e64 v38, v38, v41, s0
	v_mul_f32_e32 v40, 0x37800000, v38
	v_cndmask_b32_e32 v38, v38, v40, vcc_lo
	v_cmp_class_f32_e64 vcc_lo, v37, 0x260
	v_cndmask_b32_e32 v37, v38, v37, vcc_lo
	v_cmpx_lt_f32_e64 0x233877aa, |v37|
	s_cbranch_execz .LBB0_19
; %bb.18:                               ;   in Loop: Header=BB0_7 Depth=2
	v_div_scale_f32 v38, null, v37, v37, v31
	v_div_scale_f32 v40, null, v37, v37, v30
	;; [unrolled: 1-line block ×3, first 2 shown]
	v_rcp_f32_e32 v42, v38
	v_rcp_f32_e32 v43, v40
	v_div_scale_f32 v45, vcc_lo, v31, v37, v31
	v_rcp_f32_e32 v44, v41
	v_div_scale_f32 v46, s0, v30, v37, v30
	v_div_scale_f32 v50, s1, v32, v37, v32
	v_fma_f32 v47, -v38, v42, 1.0
	v_fma_f32 v48, -v40, v43, 1.0
	;; [unrolled: 1-line block ×3, first 2 shown]
	v_fmac_f32_e32 v42, v47, v42
	v_fmac_f32_e32 v43, v48, v43
	;; [unrolled: 1-line block ×3, first 2 shown]
	v_mul_f32_e32 v47, v45, v42
	v_mul_f32_e32 v48, v46, v43
	v_mul_f32_e32 v49, v50, v44
	v_fma_f32 v51, -v38, v47, v45
	v_fma_f32 v52, -v40, v48, v46
	v_fma_f32 v53, -v41, v49, v50
	v_fmac_f32_e32 v47, v51, v42
	v_fmac_f32_e32 v48, v52, v43
	;; [unrolled: 1-line block ×3, first 2 shown]
	v_fma_f32 v38, -v38, v47, v45
	v_fma_f32 v40, -v40, v48, v46
	;; [unrolled: 1-line block ×3, first 2 shown]
	v_div_fmas_f32 v38, v38, v42, v47
	s_mov_b32 vcc_lo, s0
	v_div_fmas_f32 v40, v40, v43, v48
	s_mov_b32 vcc_lo, s1
	v_div_fixup_f32 v31, v38, v37, v31
	v_div_fmas_f32 v41, v41, v44, v49
	v_div_fixup_f32 v30, v40, v37, v30
	v_div_fixup_f32 v32, v41, v37, v32
.LBB0_19:                               ;   in Loop: Header=BB0_7 Depth=2
	s_or_b32 exec_lo, exec_lo, s23
	v_mov_b32_e32 v37, 1
	v_mov_b32_e32 v38, v39
.LBB0_20:                               ;   in Loop: Header=BB0_7 Depth=2
	s_or_b32 exec_lo, exec_lo, s19
.LBB0_21:                               ;   in Loop: Header=BB0_7 Depth=2
	s_or_b32 exec_lo, exec_lo, s15
	v_mul_f32_e32 v39, v36, v24
	s_mov_b32 s15, exec_lo
	v_fmac_f32_e32 v39, v1, v16
	v_fmac_f32_e32 v39, v35, v18
	v_fma_f32 v40, v39, v39, v25
	v_cmpx_lt_f32_e32 0, v40
	s_cbranch_execz .LBB0_27
; %bb.22:                               ;   in Loop: Header=BB0_7 Depth=2
	v_mul_f32_e32 v41, 0x4f800000, v40
	v_cmp_gt_f32_e32 vcc_lo, 0xf800000, v40
	v_cndmask_b32_e32 v40, v40, v41, vcc_lo
	v_sqrt_f32_e32 v41, v40
	v_add_nc_u32_e32 v42, -1, v41
	v_add_nc_u32_e32 v43, 1, v41
	v_fma_f32 v44, -v42, v41, v40
	v_fma_f32 v45, -v43, v41, v40
	v_cmp_ge_f32_e64 s0, 0, v44
	v_cndmask_b32_e64 v41, v41, v42, s0
	v_cmp_lt_f32_e64 s0, 0, v45
	v_cndmask_b32_e64 v41, v41, v43, s0
	v_mul_f32_e32 v42, 0x37800000, v41
	v_cndmask_b32_e32 v41, v41, v42, vcc_lo
	v_cmp_class_f32_e64 vcc_lo, v40, 0x260
	v_cndmask_b32_e32 v40, v41, v40, vcc_lo
	v_sub_f32_e64 v39, -v39, v40
	v_cmp_lt_f32_e32 vcc_lo, 0, v39
	v_cmp_lt_f32_e64 s0, v39, v38
	s_and_b32 s0, vcc_lo, s0
	s_and_saveexec_b32 s19, s0
	s_cbranch_execz .LBB0_26
; %bb.23:                               ;   in Loop: Header=BB0_7 Depth=2
	v_fma_f32 v27, v36, v39, 0
	v_fma_f32 v28, v1, v39, 0
	;; [unrolled: 1-line block ×3, first 2 shown]
	s_mov_b32 s23, exec_lo
	v_subrev_f32_e32 v30, s25, v27
	v_subrev_f32_e32 v31, s24, v28
	;; [unrolled: 1-line block ×3, first 2 shown]
	v_mul_f32_e32 v37, v30, v30
	v_fmac_f32_e32 v37, v31, v31
	v_fmac_f32_e32 v37, v32, v32
	v_mul_f32_e32 v38, 0x4f800000, v37
	v_cmp_gt_f32_e32 vcc_lo, 0xf800000, v37
	v_cndmask_b32_e32 v37, v37, v38, vcc_lo
	v_sqrt_f32_e32 v38, v37
	v_add_nc_u32_e32 v40, -1, v38
	v_add_nc_u32_e32 v41, 1, v38
	v_fma_f32 v42, -v40, v38, v37
	v_fma_f32 v43, -v41, v38, v37
	v_cmp_ge_f32_e64 s0, 0, v42
	v_cndmask_b32_e64 v38, v38, v40, s0
	v_cmp_lt_f32_e64 s0, 0, v43
	v_cndmask_b32_e64 v38, v38, v41, s0
	v_mul_f32_e32 v40, 0x37800000, v38
	v_cndmask_b32_e32 v38, v38, v40, vcc_lo
	v_cmp_class_f32_e64 vcc_lo, v37, 0x260
	v_cndmask_b32_e32 v37, v38, v37, vcc_lo
	v_cmpx_lt_f32_e64 0x233877aa, |v37|
	s_cbranch_execz .LBB0_25
; %bb.24:                               ;   in Loop: Header=BB0_7 Depth=2
	v_div_scale_f32 v38, null, v37, v37, v31
	v_div_scale_f32 v40, null, v37, v37, v30
	;; [unrolled: 1-line block ×3, first 2 shown]
	v_rcp_f32_e32 v42, v38
	v_rcp_f32_e32 v43, v40
	v_div_scale_f32 v45, vcc_lo, v31, v37, v31
	v_rcp_f32_e32 v44, v41
	v_div_scale_f32 v46, s0, v30, v37, v30
	v_div_scale_f32 v50, s1, v32, v37, v32
	v_fma_f32 v47, -v38, v42, 1.0
	v_fma_f32 v48, -v40, v43, 1.0
	;; [unrolled: 1-line block ×3, first 2 shown]
	v_fmac_f32_e32 v42, v47, v42
	v_fmac_f32_e32 v43, v48, v43
	;; [unrolled: 1-line block ×3, first 2 shown]
	v_mul_f32_e32 v47, v45, v42
	v_mul_f32_e32 v48, v46, v43
	;; [unrolled: 1-line block ×3, first 2 shown]
	v_fma_f32 v51, -v38, v47, v45
	v_fma_f32 v52, -v40, v48, v46
	v_fma_f32 v53, -v41, v49, v50
	v_fmac_f32_e32 v47, v51, v42
	v_fmac_f32_e32 v48, v52, v43
	;; [unrolled: 1-line block ×3, first 2 shown]
	v_fma_f32 v38, -v38, v47, v45
	v_fma_f32 v40, -v40, v48, v46
	;; [unrolled: 1-line block ×3, first 2 shown]
	v_div_fmas_f32 v38, v38, v42, v47
	s_mov_b32 vcc_lo, s0
	v_div_fmas_f32 v40, v40, v43, v48
	s_mov_b32 vcc_lo, s1
	v_div_fixup_f32 v31, v38, v37, v31
	v_div_fmas_f32 v41, v41, v44, v49
	v_div_fixup_f32 v30, v40, v37, v30
	v_div_fixup_f32 v32, v41, v37, v32
.LBB0_25:                               ;   in Loop: Header=BB0_7 Depth=2
	s_or_b32 exec_lo, exec_lo, s23
	v_mov_b32_e32 v37, 1
	v_mov_b32_e32 v38, v39
.LBB0_26:                               ;   in Loop: Header=BB0_7 Depth=2
	s_or_b32 exec_lo, exec_lo, s19
.LBB0_27:                               ;   in Loop: Header=BB0_7 Depth=2
	s_or_b32 exec_lo, exec_lo, s15
	v_mul_f32_e32 v39, s12, v36
	s_mov_b32 s1, exec_lo
	v_fmac_f32_e32 v39, s11, v1
	v_fmac_f32_e32 v39, s13, v35
	v_cmpx_ngt_f32_e64 0x233877aa, |v39|
	s_cbranch_execz .LBB0_31
; %bb.28:                               ;   in Loop: Header=BB0_7 Depth=2
	v_div_scale_f32 v40, null, v39, v39, -v12
	v_div_scale_f32 v43, vcc_lo, -v12, v39, -v12
	v_rcp_f32_e32 v41, v40
	v_fma_f32 v42, -v40, v41, 1.0
	v_fmac_f32_e32 v41, v42, v41
	v_mul_f32_e32 v42, v43, v41
	v_fma_f32 v44, -v40, v42, v43
	v_fmac_f32_e32 v42, v44, v41
	v_fma_f32 v40, -v40, v42, v43
	v_div_fmas_f32 v40, v40, v41, v42
	v_div_fixup_f32 v39, v40, v39, -v12
	v_cmp_lt_f32_e32 vcc_lo, 0, v39
	v_cmp_lt_f32_e64 s0, v39, v38
	s_and_b32 s15, vcc_lo, s0
	s_and_saveexec_b32 s0, s15
	s_cbranch_execz .LBB0_30
; %bb.29:                               ;   in Loop: Header=BB0_7 Depth=2
	v_fma_f32 v29, v35, v39, 0
	v_fma_f32 v27, v36, v39, 0
	;; [unrolled: 1-line block ×3, first 2 shown]
	v_mov_b32_e32 v37, 1
	v_mov_b32_e32 v31, s11
	;; [unrolled: 1-line block ×4, first 2 shown]
.LBB0_30:                               ;   in Loop: Header=BB0_7 Depth=2
	s_or_b32 exec_lo, exec_lo, s0
.LBB0_31:                               ;   in Loop: Header=BB0_7 Depth=2
	s_or_b32 exec_lo, exec_lo, s1
	s_mov_b32 s15, exec_lo
	v_cmpx_ne_u32_e32 0, v37
	s_cbranch_execz .LBB0_6
; %bb.32:                               ;   in Loop: Header=BB0_7 Depth=2
	v_mov_b32_e32 v1, 1.0
	v_mov_b32_e32 v35, 0
	v_mov_b32_e32 v36, 0
	s_mov_b32 s0, exec_lo
	v_cmpx_ngt_f32_e64 0x3f19999a, |v31|
	s_cbranch_execz .LBB0_38
; %bb.33:                               ;   in Loop: Header=BB0_7 Depth=2
	v_mov_b32_e32 v36, 1.0
	v_mov_b32_e32 v1, 0
	v_mov_b32_e32 v35, 0
	s_mov_b32 s1, exec_lo
	v_cmpx_ngt_f32_e64 0x3f19999a, |v30|
	;; [unrolled: 7-line block ×3, first 2 shown]
; %bb.35:                               ;   in Loop: Header=BB0_7 Depth=2
	v_mov_b32_e32 v35, 0
	v_mov_b32_e32 v1, 1.0
; %bb.36:                               ;   in Loop: Header=BB0_7 Depth=2
	s_or_b32 exec_lo, exec_lo, s19
.LBB0_37:                               ;   in Loop: Header=BB0_7 Depth=2
	s_or_b32 exec_lo, exec_lo, s1
.LBB0_38:                               ;   in Loop: Header=BB0_7 Depth=2
	s_or_b32 exec_lo, exec_lo, s0
	v_mul_f32_e32 v37, v32, v1
	v_mul_f32_e32 v38, v30, v35
	s_mov_b32 s19, exec_lo
	v_fma_f32 v35, v31, v35, -v37
	v_mul_f32_e32 v37, v31, v36
	v_fma_f32 v36, v32, v36, -v38
	v_mul_f32_e32 v38, v35, v35
	v_fma_f32 v37, v30, v1, -v37
	v_fmac_f32_e32 v38, v36, v36
	v_fmac_f32_e32 v38, v37, v37
	v_mul_f32_e32 v1, 0x4f800000, v38
	v_cmp_gt_f32_e32 vcc_lo, 0xf800000, v38
	v_cndmask_b32_e32 v1, v38, v1, vcc_lo
	v_sqrt_f32_e32 v38, v1
	v_add_nc_u32_e32 v39, -1, v38
	v_add_nc_u32_e32 v40, 1, v38
	v_fma_f32 v41, -v39, v38, v1
	v_fma_f32 v42, -v40, v38, v1
	v_cmp_ge_f32_e64 s0, 0, v41
	v_cndmask_b32_e64 v38, v38, v39, s0
	v_cmp_lt_f32_e64 s0, 0, v42
	v_cndmask_b32_e64 v38, v38, v40, s0
	v_mul_f32_e32 v39, 0x37800000, v38
	v_cndmask_b32_e32 v38, v38, v39, vcc_lo
	v_cmp_class_f32_e64 vcc_lo, v1, 0x260
	v_cndmask_b32_e32 v1, v38, v1, vcc_lo
	v_cmpx_lt_f32_e64 0x233877aa, |v1|
	s_cbranch_execz .LBB0_40
; %bb.39:                               ;   in Loop: Header=BB0_7 Depth=2
	v_div_scale_f32 v38, null, v1, v1, v36
	v_div_scale_f32 v39, null, v1, v1, v35
	;; [unrolled: 1-line block ×3, first 2 shown]
	v_rcp_f32_e32 v41, v38
	v_rcp_f32_e32 v42, v39
	v_div_scale_f32 v44, vcc_lo, v36, v1, v36
	v_rcp_f32_e32 v43, v40
	v_div_scale_f32 v45, s0, v35, v1, v35
	v_div_scale_f32 v49, s1, v37, v1, v37
	v_fma_f32 v46, -v38, v41, 1.0
	v_fma_f32 v47, -v39, v42, 1.0
	;; [unrolled: 1-line block ×3, first 2 shown]
	v_fmac_f32_e32 v41, v46, v41
	v_fmac_f32_e32 v42, v47, v42
	;; [unrolled: 1-line block ×3, first 2 shown]
	v_mul_f32_e32 v46, v44, v41
	v_mul_f32_e32 v47, v45, v42
	;; [unrolled: 1-line block ×3, first 2 shown]
	v_fma_f32 v50, -v38, v46, v44
	v_fma_f32 v51, -v39, v47, v45
	;; [unrolled: 1-line block ×3, first 2 shown]
	v_fmac_f32_e32 v46, v50, v41
	v_fmac_f32_e32 v47, v51, v42
	;; [unrolled: 1-line block ×3, first 2 shown]
	v_fma_f32 v38, -v38, v46, v44
	v_fma_f32 v39, -v39, v47, v45
	;; [unrolled: 1-line block ×3, first 2 shown]
	v_div_fmas_f32 v38, v38, v41, v46
	s_mov_b32 vcc_lo, s0
	v_div_fmas_f32 v39, v39, v42, v47
	s_mov_b32 vcc_lo, s1
	v_div_fixup_f32 v36, v38, v1, v36
	v_div_fmas_f32 v40, v40, v43, v48
	v_div_fixup_f32 v35, v39, v1, v35
	v_div_fixup_f32 v37, v40, v1, v37
.LBB0_40:                               ;   in Loop: Header=BB0_7 Depth=2
	s_or_b32 exec_lo, exec_lo, s19
	v_mul_f32_e32 v1, v31, v37
	v_mul_f32_e32 v39, v32, v35
	s_mov_b32 s19, exec_lo
	v_fma_f32 v38, v32, v36, -v1
	v_mul_f32_e32 v1, v30, v36
	v_fma_f32 v39, v30, v37, -v39
	v_mul_f32_e32 v41, v38, v38
	v_fma_f32 v40, v31, v35, -v1
	v_fmac_f32_e32 v41, v39, v39
	v_fmac_f32_e32 v41, v40, v40
	v_mul_f32_e32 v1, 0x4f800000, v41
	v_cmp_gt_f32_e32 vcc_lo, 0xf800000, v41
	v_cndmask_b32_e32 v1, v41, v1, vcc_lo
	v_sqrt_f32_e32 v41, v1
	v_add_nc_u32_e32 v42, -1, v41
	v_add_nc_u32_e32 v43, 1, v41
	v_fma_f32 v44, -v42, v41, v1
	v_fma_f32 v45, -v43, v41, v1
	v_cmp_ge_f32_e64 s0, 0, v44
	v_cndmask_b32_e64 v41, v41, v42, s0
	v_cmp_lt_f32_e64 s0, 0, v45
	v_cndmask_b32_e64 v41, v41, v43, s0
	v_mul_f32_e32 v42, 0x37800000, v41
	v_cndmask_b32_e32 v41, v41, v42, vcc_lo
	v_cmp_class_f32_e64 vcc_lo, v1, 0x260
	v_cndmask_b32_e32 v1, v41, v1, vcc_lo
	v_cmpx_lt_f32_e64 0x233877aa, |v1|
	s_cbranch_execz .LBB0_42
; %bb.41:                               ;   in Loop: Header=BB0_7 Depth=2
	v_div_scale_f32 v41, null, v1, v1, v39
	v_div_scale_f32 v42, null, v1, v1, v38
	;; [unrolled: 1-line block ×3, first 2 shown]
	v_rcp_f32_e32 v44, v41
	v_rcp_f32_e32 v45, v42
	v_div_scale_f32 v47, vcc_lo, v39, v1, v39
	v_rcp_f32_e32 v46, v43
	v_div_scale_f32 v48, s0, v38, v1, v38
	v_div_scale_f32 v52, s1, v40, v1, v40
	v_fma_f32 v49, -v41, v44, 1.0
	v_fma_f32 v50, -v42, v45, 1.0
	v_fma_f32 v51, -v43, v46, 1.0
	v_fmac_f32_e32 v44, v49, v44
	v_fmac_f32_e32 v45, v50, v45
	;; [unrolled: 1-line block ×3, first 2 shown]
	v_mul_f32_e32 v49, v47, v44
	v_mul_f32_e32 v50, v48, v45
	;; [unrolled: 1-line block ×3, first 2 shown]
	v_fma_f32 v53, -v41, v49, v47
	v_fma_f32 v54, -v42, v50, v48
	;; [unrolled: 1-line block ×3, first 2 shown]
	v_fmac_f32_e32 v49, v53, v44
	v_fmac_f32_e32 v50, v54, v45
	;; [unrolled: 1-line block ×3, first 2 shown]
	v_fma_f32 v41, -v41, v49, v47
	v_fma_f32 v42, -v42, v50, v48
	;; [unrolled: 1-line block ×3, first 2 shown]
	v_div_fmas_f32 v41, v41, v44, v49
	s_mov_b32 vcc_lo, s0
	v_div_fmas_f32 v42, v42, v45, v50
	s_mov_b32 vcc_lo, s1
	v_div_fixup_f32 v39, v41, v1, v39
	v_div_fmas_f32 v43, v43, v46, v51
	v_div_fixup_f32 v38, v42, v1, v38
	v_div_fixup_f32 v40, v43, v1, v40
.LBB0_42:                               ;   in Loop: Header=BB0_7 Depth=2
	s_or_b32 exec_lo, exec_lo, s19
	s_clause 0x1
	s_load_dwordx2 s[0:1], s[6:7], 0x14
	s_load_dwordx2 s[28:29], s[6:7], 0x24
	v_fmamk_f32 v1, v31, 0x38d1b717, v28
	v_fmamk_f32 v48, v30, 0x38d1b717, v27
	s_clause 0x1
	s_load_dword s19, s[6:7], 0x1c
	s_load_dword s23, s[6:7], 0x2c
	v_fmamk_f32 v50, v32, 0x38d1b717, v29
	v_subrev_f32_e32 v41, s16, v1
	v_subrev_f32_e32 v42, s17, v48
	;; [unrolled: 1-line block ×3, first 2 shown]
	v_mul_f32_e32 v51, s11, v1
	v_subrev_f32_e32 v47, s24, v1
	v_mul_f32_e32 v52, v41, v41
	v_subrev_f32_e32 v43, s18, v50
	v_fmac_f32_e32 v51, s12, v48
	v_fmac_f32_e32 v52, v42, v42
	;; [unrolled: 1-line block ×3, first 2 shown]
	s_waitcnt lgkmcnt(0)
	v_subrev_f32_e32 v45, s0, v48
	v_subrev_f32_e32 v46, s28, v48
	;; [unrolled: 1-line block ×4, first 2 shown]
	v_fmac_f32_e32 v52, v43, v43
	v_mul_f32_e32 v1, v45, v45
	v_mul_f32_e32 v53, v46, v46
	v_sub_f32_e32 v50, v51, v6
	v_sub_f32_e32 v51, v20, v52
	v_fmac_f32_e32 v1, v44, v44
	v_fmac_f32_e32 v53, v47, v47
	;; [unrolled: 1-line block ×4, first 2 shown]
	v_fma_f32 v52, s19, s19, -v1
	v_fma_f32 v54, s23, s23, -v53
	v_mov_b32_e32 v53, 0
	s_mov_b32 s19, 0
	s_branch .LBB0_44
.LBB0_43:                               ;   in Loop: Header=BB0_44 Depth=3
	s_add_i32 s19, s19, 1
	s_cmp_lg_u32 s19, 8
	s_cbranch_scc0 .LBB0_5
.LBB0_44:                               ;   Parent Loop BB0_4 Depth=1
                                        ;     Parent Loop BB0_7 Depth=2
                                        ; =>    This Loop Header: Depth=3
                                        ;         Child Loop BB0_46 Depth 4
	s_mov_b32 s23, 8
	s_branch .LBB0_46
.LBB0_45:                               ;   in Loop: Header=BB0_46 Depth=4
	s_or_b32 exec_lo, exec_lo, s1
	v_add_f32_e32 v1, 1.0, v53
	v_cmp_eq_u32_e32 vcc_lo, 0, v57
	s_add_i32 s23, s23, -1
	s_cmp_lg_u32 s23, 0
	v_cndmask_b32_e32 v53, v1, v53, vcc_lo
	s_cbranch_scc0 .LBB0_43
.LBB0_46:                               ;   Parent Loop BB0_4 Depth=1
                                        ;     Parent Loop BB0_7 Depth=2
                                        ;       Parent Loop BB0_44 Depth=3
                                        ; =>      This Inner Loop Header: Depth=4
	v_lshrrev_b32_e32 v1, 6, v26
                                        ; implicit-def: $vgpr59
                                        ; implicit-def: $vgpr58
	v_xor_b32_e32 v1, v1, v26
	v_lshlrev_b32_e32 v26, 17, v1
	v_xor_b32_e32 v1, v26, v1
	v_lshrrev_b32_e32 v26, 9, v1
	v_xor_b32_e32 v57, v26, v1
	v_lshrrev_b32_e32 v1, 6, v57
	v_xor_b32_e32 v1, v1, v57
	v_lshlrev_b32_e32 v26, 17, v1
	v_xor_b32_e32 v1, v26, v1
	v_lshrrev_b32_e32 v26, 9, v1
	v_xor_b32_e32 v26, v26, v1
	v_and_or_b32 v1, 0x7fffff, v26, 1.0
	v_add_f32_e32 v1, -1.0, v1
	v_mul_f32_e32 v55, 0x40c90fdb, v1
	v_and_b32_e32 v56, 0x7fffffff, v55
	v_cmp_ngt_f32_e64 s27, 0x48000000, |v55|
	v_lshrrev_b32_e32 v1, 23, v56
	v_and_or_b32 v60, 0x7fffff, v56, s8
	v_add_nc_u32_e32 v61, 0xffffff88, v1
	s_and_saveexec_b32 s0, s27
	s_xor_b32 s28, exec_lo, s0
	s_cbranch_execz .LBB0_48
; %bb.47:                               ;   in Loop: Header=BB0_46 Depth=4
	v_mad_u64_u32 v[58:59], null, 0xfe5163ab, v60, 0
	v_cmp_lt_u32_e32 vcc_lo, 63, v61
	v_mov_b32_e32 v1, v59
	v_cndmask_b32_e64 v59, 0, 0xffffffc0, vcc_lo
	v_mad_u64_u32 v[62:63], null, 0x3c439041, v60, v[1:2]
	v_add_nc_u32_e32 v59, v59, v61
	v_cmp_lt_u32_e64 s0, 31, v59
	v_mov_b32_e32 v1, v63
	v_cndmask_b32_e64 v68, 0, 0xffffffe0, s0
	v_mad_u64_u32 v[63:64], null, 0xdb629599, v60, v[1:2]
	v_add_nc_u32_e32 v59, v68, v59
	v_mov_b32_e32 v1, v64
	v_cmp_lt_u32_e64 s1, 31, v59
	v_cndmask_b32_e32 v58, v63, v58, vcc_lo
	v_mad_u64_u32 v[64:65], null, 0xf534ddc0, v60, v[1:2]
	v_mov_b32_e32 v1, v65
	v_mad_u64_u32 v[65:66], null, 0xfc2757d1, v60, v[1:2]
	v_mov_b32_e32 v1, v66
	v_mad_u64_u32 v[66:67], null, 0x4e441529, v60, v[1:2]
	v_mov_b32_e32 v1, v67
	v_cndmask_b32_e32 v69, v66, v64, vcc_lo
	v_mad_u64_u32 v[67:68], null, 0xa2f9836e, v60, v[1:2]
	v_cndmask_b32_e64 v1, 0, 0xffffffe0, s1
	v_add_nc_u32_e32 v1, v1, v59
	v_cndmask_b32_e32 v67, v67, v65, vcc_lo
	v_cndmask_b32_e32 v66, v68, v66, vcc_lo
	;; [unrolled: 1-line block ×4, first 2 shown]
	v_cmp_eq_u32_e32 vcc_lo, 0, v1
	v_cndmask_b32_e64 v62, v67, v69, s0
	v_cndmask_b32_e64 v64, v66, v67, s0
	v_cndmask_b32_e64 v66, v69, v65, s0
	v_sub_nc_u32_e32 v67, 32, v1
	v_cndmask_b32_e64 v65, v65, v59, s0
	v_cndmask_b32_e64 v58, v59, v58, s0
	v_cndmask_b32_e64 v64, v64, v62, s1
	v_cndmask_b32_e64 v62, v62, v66, s1
	v_cndmask_b32_e64 v66, v66, v65, s1
	v_cndmask_b32_e64 v58, v65, v58, s1
	v_alignbit_b32 v68, v64, v62, v67
	v_alignbit_b32 v63, v62, v66, v67
	;; [unrolled: 1-line block ×3, first 2 shown]
	v_cndmask_b32_e32 v1, v68, v64, vcc_lo
	v_cndmask_b32_e32 v59, v63, v62, vcc_lo
	;; [unrolled: 1-line block ×3, first 2 shown]
	v_bfe_u32 v62, v1, 29, 1
	v_alignbit_b32 v63, v1, v59, 30
	v_alignbit_b32 v59, v59, v65, 30
	;; [unrolled: 1-line block ×3, first 2 shown]
	v_sub_nc_u32_e32 v64, 0, v62
	v_xor_b32_e32 v63, v63, v64
	v_xor_b32_e32 v59, v59, v64
	;; [unrolled: 1-line block ×3, first 2 shown]
	v_lshrrev_b32_e32 v64, 29, v1
	v_lshrrev_b32_e32 v1, 30, v1
	v_ffbh_u32_e32 v66, v63
	v_min_u32_e32 v66, 32, v66
	v_sub_nc_u32_e32 v65, 31, v66
	v_lshlrev_b32_e32 v67, 23, v66
	v_alignbit_b32 v63, v63, v59, v65
	v_alignbit_b32 v58, v59, v58, v65
	v_lshlrev_b32_e32 v59, 31, v64
	v_alignbit_b32 v64, v63, v58, 9
	v_or_b32_e32 v65, 0.5, v59
	v_lshrrev_b32_e32 v63, 9, v63
	v_or_b32_e32 v59, 0x33000000, v59
	v_ffbh_u32_e32 v68, v64
	v_sub_nc_u32_e32 v65, v65, v67
	v_min_u32_e32 v67, 32, v68
	v_or_b32_e32 v63, v63, v65
	v_not_b32_e32 v65, v67
	v_mul_f32_e32 v68, 0x3fc90fda, v63
	v_add_lshl_u32 v66, v67, v66, 23
	v_alignbit_b32 v58, v64, v58, v65
	v_fma_f32 v64, 0x3fc90fda, v63, -v68
	v_sub_nc_u32_e32 v59, v59, v66
	v_lshrrev_b32_e32 v58, 9, v58
	v_fmac_f32_e32 v64, 0x33a22168, v63
	v_or_b32_e32 v58, v59, v58
	v_add_nc_u32_e32 v59, v62, v1
	v_fmac_f32_e32 v64, 0x3fc90fda, v58
	v_add_f32_e32 v58, v68, v64
.LBB0_48:                               ;   in Loop: Header=BB0_46 Depth=4
	s_or_saveexec_b32 s0, s28
	v_mul_f32_e64 v1, 0x3f22f983, |v55|
	v_rndne_f32_e32 v63, v1
	s_xor_b32 exec_lo, exec_lo, s0
; %bb.49:                               ;   in Loop: Header=BB0_46 Depth=4
	v_fma_f32 v58, 0xbfc90fda, v63, |v55|
	v_cvt_i32_f32_e32 v59, v63
	v_fmac_f32_e32 v58, 0xb3a22168, v63
	v_fmac_f32_e32 v58, 0xa7c234c4, v63
; %bb.50:                               ;   in Loop: Header=BB0_46 Depth=4
	s_or_b32 exec_lo, exec_lo, s0
                                        ; implicit-def: $vgpr62
                                        ; implicit-def: $vgpr1
	s_and_saveexec_b32 s0, s27
	s_xor_b32 s27, exec_lo, s0
	s_cbranch_execz .LBB0_52
; %bb.51:                               ;   in Loop: Header=BB0_46 Depth=4
	v_mad_u64_u32 v[62:63], null, 0xfe5163ab, v60, 0
	v_cmp_lt_u32_e32 vcc_lo, 63, v61
	v_cndmask_b32_e64 v68, 0, 0xffffffc0, vcc_lo
	v_mov_b32_e32 v1, v63
	v_add_nc_u32_e32 v61, v68, v61
	v_mad_u64_u32 v[63:64], null, 0x3c439041, v60, v[1:2]
	v_cmp_lt_u32_e64 s0, 31, v61
	v_mov_b32_e32 v1, v64
	v_cndmask_b32_e64 v69, 0, 0xffffffe0, s0
	v_mad_u64_u32 v[64:65], null, 0xdb629599, v60, v[1:2]
	v_mov_b32_e32 v1, v65
	v_cndmask_b32_e32 v62, v64, v62, vcc_lo
	v_mad_u64_u32 v[65:66], null, 0xf534ddc0, v60, v[1:2]
	v_mov_b32_e32 v1, v66
	v_cndmask_b32_e32 v63, v65, v63, vcc_lo
	v_mad_u64_u32 v[66:67], null, 0xfc2757d1, v60, v[1:2]
	v_mov_b32_e32 v1, v67
	v_mad_u64_u32 v[67:68], null, 0x4e441529, v60, v[1:2]
	v_mov_b32_e32 v1, v68
	v_add_nc_u32_e32 v68, v69, v61
	v_cndmask_b32_e32 v69, v67, v65, vcc_lo
	v_mad_u64_u32 v[60:61], null, 0xa2f9836e, v60, v[1:2]
	v_cmp_lt_u32_e64 s1, 31, v68
	v_cndmask_b32_e64 v1, 0, 0xffffffe0, s1
	v_cndmask_b32_e32 v60, v60, v66, vcc_lo
	v_cndmask_b32_e32 v61, v61, v67, vcc_lo
	v_cndmask_b32_e32 v66, v66, v64, vcc_lo
	v_add_nc_u32_e32 v1, v1, v68
	v_cndmask_b32_e64 v65, v60, v69, s0
	v_cndmask_b32_e64 v60, v61, v60, s0
	;; [unrolled: 1-line block ×4, first 2 shown]
	v_sub_nc_u32_e32 v67, 32, v1
	v_cmp_eq_u32_e32 vcc_lo, 0, v1
	v_cndmask_b32_e64 v60, v60, v65, s1
	v_cndmask_b32_e64 v65, v65, v61, s1
	;; [unrolled: 1-line block ×3, first 2 shown]
	v_alignbit_b32 v68, v60, v65, v67
	v_alignbit_b32 v64, v65, v61, v67
	v_cndmask_b32_e32 v1, v68, v60, vcc_lo
	v_cndmask_b32_e64 v60, v63, v62, s0
	v_cndmask_b32_e32 v62, v64, v65, vcc_lo
	v_bfe_u32 v63, v1, 29, 1
	v_cndmask_b32_e64 v60, v66, v60, s1
	v_alignbit_b32 v64, v1, v62, 30
	v_sub_nc_u32_e32 v65, 0, v63
	v_alignbit_b32 v66, v61, v60, v67
	v_xor_b32_e32 v64, v64, v65
	v_cndmask_b32_e32 v61, v66, v61, vcc_lo
	v_ffbh_u32_e32 v66, v64
	v_alignbit_b32 v62, v62, v61, 30
	v_alignbit_b32 v60, v61, v60, 30
	v_min_u32_e32 v66, 32, v66
	v_xor_b32_e32 v61, v62, v65
	v_xor_b32_e32 v60, v60, v65
	v_lshrrev_b32_e32 v65, 29, v1
	v_sub_nc_u32_e32 v62, 31, v66
	v_lshlrev_b32_e32 v67, 23, v66
	v_alignbit_b32 v64, v64, v61, v62
	v_alignbit_b32 v60, v61, v60, v62
	v_lshlrev_b32_e32 v61, 31, v65
	v_alignbit_b32 v62, v64, v60, 9
	v_or_b32_e32 v65, 0.5, v61
	v_lshrrev_b32_e32 v64, 9, v64
	v_or_b32_e32 v61, 0x33000000, v61
	v_ffbh_u32_e32 v68, v62
	v_sub_nc_u32_e32 v65, v65, v67
	v_min_u32_e32 v67, 32, v68
	v_or_b32_e32 v64, v64, v65
	v_not_b32_e32 v65, v67
	v_mul_f32_e32 v68, 0x3fc90fda, v64
	v_add_lshl_u32 v66, v67, v66, 23
	v_alignbit_b32 v60, v62, v60, v65
	v_fma_f32 v62, 0x3fc90fda, v64, -v68
	v_sub_nc_u32_e32 v61, v61, v66
	v_lshrrev_b32_e32 v60, 9, v60
	v_fmac_f32_e32 v62, 0x33a22168, v64
	v_or_b32_e32 v60, v61, v60
	v_fmac_f32_e32 v62, 0x3fc90fda, v60
	v_lshrrev_b32_e32 v60, 30, v1
	v_add_f32_e32 v1, v68, v62
	v_add_nc_u32_e32 v62, v63, v60
                                        ; implicit-def: $vgpr63
	s_andn2_saveexec_b32 s0, s27
	s_cbranch_execnz .LBB0_53
	s_branch .LBB0_54
.LBB0_52:                               ;   in Loop: Header=BB0_46 Depth=4
	s_andn2_saveexec_b32 s0, s27
.LBB0_53:                               ;   in Loop: Header=BB0_46 Depth=4
	v_fma_f32 v1, 0xbfc90fda, v63, |v55|
	v_cvt_i32_f32_e32 v62, v63
	v_fmac_f32_e32 v1, 0xb3a22168, v63
	v_fmac_f32_e32 v1, 0xa7c234c4, v63
.LBB0_54:                               ;   in Loop: Header=BB0_46 Depth=4
	s_or_b32 exec_lo, exec_lo, s0
	v_and_or_b32 v57, 0x7fffff, v57, 1.0
	v_xor_b32_e32 v56, v56, v55
	v_add_f32_e32 v57, -1.0, v57
	v_mul_f32_e32 v60, 0x4f800000, v57
	v_cmp_gt_f32_e32 vcc_lo, 0xf800000, v57
	v_cndmask_b32_e32 v57, v57, v60, vcc_lo
	v_sqrt_f32_e32 v60, v57
	v_add_nc_u32_e32 v61, -1, v60
	v_add_nc_u32_e32 v63, 1, v60
	v_fma_f32 v64, -v61, v60, v57
	v_fma_f32 v65, -v63, v60, v57
	v_cmp_ge_f32_e64 s0, 0, v64
	v_and_b32_e32 v64, 1, v62
	v_lshlrev_b32_e32 v62, 30, v62
	v_cndmask_b32_e64 v60, v60, v61, s0
	v_cmp_lt_f32_e64 s0, 0, v65
	v_and_b32_e32 v62, 0x80000000, v62
	v_cndmask_b32_e64 v60, v60, v63, s0
	v_mul_f32_e32 v63, v1, v1
	v_mul_f32_e32 v61, 0x37800000, v60
	v_fmaak_f32 v69, s9, v63, 0x3c0881c4
	v_fmaak_f32 v70, s10, v63, 0xbab64f3b
	v_cndmask_b32_e32 v60, v60, v61, vcc_lo
	v_cmp_class_f32_e64 vcc_lo, v57, 0x260
	v_mul_f32_e32 v61, v58, v58
	v_cndmask_b32_e32 v57, v60, v57, vcc_lo
	v_fmaak_f32 v66, s9, v61, 0x3c0881c4
	v_fmaak_f32 v67, s10, v61, 0xbab64f3b
	v_and_b32_e32 v60, 1, v59
	v_lshlrev_b32_e32 v59, 30, v59
	v_fma_f32 v65, -v57, v57, 1.0
	v_fmaak_f32 v66, v61, v66, 0xbe2aaa9d
	v_fmaak_f32 v67, v61, v67, 0x3d2aabf7
	v_cmp_eq_u32_e64 s0, 0, v60
	v_and_b32_e32 v59, 0x80000000, v59
	v_mul_f32_e32 v68, 0x4f800000, v65
	v_cmp_gt_f32_e32 vcc_lo, 0xf800000, v65
	v_mul_f32_e32 v66, v61, v66
	v_fmaak_f32 v67, v61, v67, 0xbf000004
	v_cndmask_b32_e32 v65, v65, v68, vcc_lo
	v_fmaak_f32 v68, v63, v69, 0xbe2aaa9d
	v_fmaak_f32 v69, v63, v70, 0x3d2aabf7
	v_fmac_f32_e32 v58, v58, v66
	v_fma_f32 v61, v61, v67, 1.0
	v_sqrt_f32_e32 v70, v65
	v_mul_f32_e32 v68, v63, v68
	v_fmaak_f32 v69, v63, v69, 0xbf000004
	v_cndmask_b32_e64 v58, -v58, v61, s0
	v_cmp_eq_u32_e64 s0, 0, v64
	v_fmac_f32_e32 v1, v1, v68
	v_fma_f32 v63, v63, v69, 1.0
	v_xor_b32_e32 v58, v59, v58
	v_add_nc_u32_e32 v66, -1, v70
	v_add_nc_u32_e32 v60, 1, v70
	v_cndmask_b32_e64 v1, v63, v1, s0
	v_cmp_class_f32_e64 s0, v55, 0x1f8
	v_fma_f32 v61, -v66, v70, v65
	v_fma_f32 v55, -v60, v70, v65
	v_xor3_b32 v1, v56, v62, v1
	v_cndmask_b32_e64 v58, 0x7fc00000, v58, s0
	v_cmp_ge_f32_e64 s1, 0, v61
	v_cndmask_b32_e64 v1, 0x7fc00000, v1, s0
	v_cmp_lt_f32_e64 s0, 0, v55
	v_cndmask_b32_e64 v56, v70, v66, s1
	s_mov_b32 s1, exec_lo
	v_mul_f32_e32 v59, v57, v1
	v_mul_f32_e32 v57, v57, v58
	v_cndmask_b32_e64 v56, v56, v60, s0
	v_mul_f32_e32 v55, v38, v59
	v_mul_f32_e32 v1, 0x37800000, v56
	v_fmac_f32_e32 v55, v35, v57
	v_cndmask_b32_e32 v56, v56, v1, vcc_lo
	v_cmp_class_f32_e64 vcc_lo, v65, 0x260
	v_mul_f32_e32 v1, v39, v59
	v_cndmask_b32_e32 v58, v56, v65, vcc_lo
	v_mul_f32_e32 v56, v40, v59
	v_fmac_f32_e32 v1, v36, v57
	v_fmac_f32_e32 v55, v30, v58
	;; [unrolled: 1-line block ×4, first 2 shown]
	v_mov_b32_e32 v57, 0
	v_mul_f32_e32 v59, v42, v55
	v_fmac_f32_e32 v56, v32, v58
	v_mov_b32_e32 v58, 0x5bb1a2bc
	v_fmac_f32_e32 v59, v41, v1
	v_fmac_f32_e32 v59, v43, v56
	v_fma_f32 v60, v59, v59, v51
	v_cmpx_lt_f32_e32 0, v60
	s_cbranch_execz .LBB0_56
; %bb.55:                               ;   in Loop: Header=BB0_46 Depth=4
	v_mul_f32_e32 v57, 0x4f800000, v60
	v_cmp_gt_f32_e32 vcc_lo, 0xf800000, v60
	v_cndmask_b32_e32 v57, v60, v57, vcc_lo
	v_sqrt_f32_e32 v58, v57
	v_add_nc_u32_e32 v60, -1, v58
	v_add_nc_u32_e32 v61, 1, v58
	v_fma_f32 v62, -v60, v58, v57
	v_fma_f32 v63, -v61, v58, v57
	v_cmp_ge_f32_e64 s0, 0, v62
	v_cndmask_b32_e64 v58, v58, v60, s0
	v_cmp_lt_f32_e64 s0, 0, v63
	v_cndmask_b32_e64 v58, v58, v61, s0
	v_mul_f32_e32 v60, 0x37800000, v58
	v_cndmask_b32_e32 v58, v58, v60, vcc_lo
	v_cmp_class_f32_e64 vcc_lo, v57, 0x260
	v_cndmask_b32_e32 v57, v58, v57, vcc_lo
	v_sub_f32_e64 v58, -v59, v57
	v_cmp_lt_f32_e32 vcc_lo, 0, v58
	v_cmp_gt_f32_e64 s0, 0x5bb1a2bc, v58
	s_and_b32 vcc_lo, vcc_lo, s0
	v_cndmask_b32_e64 v57, 0, 1, vcc_lo
	v_cndmask_b32_e32 v58, 0x5bb1a2bc, v58, vcc_lo
.LBB0_56:                               ;   in Loop: Header=BB0_46 Depth=4
	s_or_b32 exec_lo, exec_lo, s1
	v_mul_f32_e32 v59, v45, v55
	s_mov_b32 s1, exec_lo
	v_fmac_f32_e32 v59, v44, v1
	v_fmac_f32_e32 v59, v48, v56
	v_fma_f32 v60, v59, v59, v52
	v_cmpx_lt_f32_e32 0, v60
	s_cbranch_execz .LBB0_58
; %bb.57:                               ;   in Loop: Header=BB0_46 Depth=4
	v_mul_f32_e32 v61, 0x4f800000, v60
	v_cmp_gt_f32_e32 vcc_lo, 0xf800000, v60
	v_cndmask_b32_e32 v60, v60, v61, vcc_lo
	v_sqrt_f32_e32 v61, v60
	v_add_nc_u32_e32 v62, -1, v61
	v_add_nc_u32_e32 v63, 1, v61
	v_fma_f32 v64, -v62, v61, v60
	v_fma_f32 v65, -v63, v61, v60
	v_cmp_ge_f32_e64 s0, 0, v64
	v_cndmask_b32_e64 v61, v61, v62, s0
	v_cmp_lt_f32_e64 s0, 0, v65
	v_cndmask_b32_e64 v61, v61, v63, s0
	v_mul_f32_e32 v62, 0x37800000, v61
	v_cndmask_b32_e32 v61, v61, v62, vcc_lo
	v_cmp_class_f32_e64 vcc_lo, v60, 0x260
	v_cndmask_b32_e32 v60, v61, v60, vcc_lo
	v_sub_f32_e64 v59, -v59, v60
	v_cmp_lt_f32_e32 vcc_lo, 0, v59
	v_cmp_lt_f32_e64 s0, v59, v58
	s_and_b32 vcc_lo, vcc_lo, s0
	v_cndmask_b32_e64 v57, v57, 1, vcc_lo
	v_cndmask_b32_e32 v58, v58, v59, vcc_lo
.LBB0_58:                               ;   in Loop: Header=BB0_46 Depth=4
	s_or_b32 exec_lo, exec_lo, s1
	v_mul_f32_e32 v59, v46, v55
	s_mov_b32 s1, exec_lo
	v_fmac_f32_e32 v59, v47, v1
	v_fmac_f32_e32 v59, v49, v56
	v_fma_f32 v60, v59, v59, v54
	v_cmpx_lt_f32_e32 0, v60
	s_cbranch_execz .LBB0_60
; %bb.59:                               ;   in Loop: Header=BB0_46 Depth=4
	v_mul_f32_e32 v61, 0x4f800000, v60
	v_cmp_gt_f32_e32 vcc_lo, 0xf800000, v60
	v_cndmask_b32_e32 v60, v60, v61, vcc_lo
	v_sqrt_f32_e32 v61, v60
	v_add_nc_u32_e32 v62, -1, v61
	v_add_nc_u32_e32 v63, 1, v61
	v_fma_f32 v64, -v62, v61, v60
	v_fma_f32 v65, -v63, v61, v60
	v_cmp_ge_f32_e64 s0, 0, v64
	v_cndmask_b32_e64 v61, v61, v62, s0
	v_cmp_lt_f32_e64 s0, 0, v65
	v_cndmask_b32_e64 v61, v61, v63, s0
	v_mul_f32_e32 v62, 0x37800000, v61
	v_cndmask_b32_e32 v61, v61, v62, vcc_lo
	v_cmp_class_f32_e64 vcc_lo, v60, 0x260
	v_cndmask_b32_e32 v60, v61, v60, vcc_lo
	v_sub_f32_e64 v59, -v59, v60
	v_cmp_lt_f32_e32 vcc_lo, 0, v59
	v_cmp_lt_f32_e64 s0, v59, v58
	s_and_b32 vcc_lo, vcc_lo, s0
	v_cndmask_b32_e64 v57, v57, 1, vcc_lo
	v_cndmask_b32_e32 v58, v58, v59, vcc_lo
.LBB0_60:                               ;   in Loop: Header=BB0_46 Depth=4
	s_or_b32 exec_lo, exec_lo, s1
	v_mul_f32_e32 v55, s12, v55
	s_mov_b32 s1, exec_lo
	v_fmac_f32_e32 v55, s11, v1
	v_fmac_f32_e32 v55, s13, v56
	v_cmpx_ngt_f32_e64 0x233877aa, |v55|
	s_cbranch_execz .LBB0_45
; %bb.61:                               ;   in Loop: Header=BB0_46 Depth=4
	v_div_scale_f32 v1, null, v55, v55, -v50
	v_div_scale_f32 v60, vcc_lo, -v50, v55, -v50
	v_rcp_f32_e32 v56, v1
	v_fma_f32 v59, -v1, v56, 1.0
	v_fmac_f32_e32 v56, v59, v56
	v_mul_f32_e32 v59, v60, v56
	v_fma_f32 v61, -v1, v59, v60
	v_fmac_f32_e32 v59, v61, v56
	v_fma_f32 v1, -v1, v59, v60
	v_div_fmas_f32 v1, v1, v56, v59
	v_div_fixup_f32 v1, v1, v55, -v50
	v_cmp_lt_f32_e32 vcc_lo, 0, v1
	v_cmp_lt_f32_e64 s0, v1, v58
	s_and_b32 s0, vcc_lo, s0
	v_cndmask_b32_e64 v57, v57, 1, s0
	s_branch .LBB0_45
.LBB0_62:
	v_mov_b32_e32 v3, 0
	v_mov_b32_e32 v5, 0
	;; [unrolled: 1-line block ×3, first 2 shown]
.LBB0_63:
	s_mul_i32 s2, s2, s2
	v_lshl_add_u32 v0, v0, 1, v0
	v_cvt_f32_u32_e32 v1, s2
	v_div_scale_f32 v2, null, v1, v1, v3
	v_div_scale_f32 v6, null, v1, v1, v5
	;; [unrolled: 1-line block ×3, first 2 shown]
	v_rcp_f32_e32 v7, v2
	v_rcp_f32_e32 v9, v6
	v_div_scale_f32 v12, vcc_lo, v3, v1, v3
	v_rcp_f32_e32 v10, v8
	v_div_scale_f32 v14, s0, v5, v1, v5
	v_fma_f32 v11, -v2, v7, 1.0
	v_fma_f32 v13, -v6, v9, 1.0
	v_fmac_f32_e32 v7, v11, v7
	v_fma_f32 v11, -v8, v10, 1.0
	v_fmac_f32_e32 v9, v13, v9
	v_div_scale_f32 v13, s1, v4, v1, v4
	v_mul_f32_e32 v15, v12, v7
	v_fmac_f32_e32 v10, v11, v10
	v_mul_f32_e32 v11, v14, v9
	v_fma_f32 v16, -v2, v15, v12
	v_mul_f32_e32 v17, v13, v10
	v_fma_f32 v18, -v6, v11, v14
	v_fmac_f32_e32 v15, v16, v7
	v_fma_f32 v16, -v8, v17, v13
	v_fmac_f32_e32 v11, v18, v9
	;; [unrolled: 2-line block ×3, first 2 shown]
	v_fma_f32 v6, -v6, v11, v14
	v_div_fmas_f32 v2, v2, v7, v15
	s_mov_b32 vcc_lo, s0
	v_fma_f32 v7, -v8, v17, v13
	v_div_fmas_f32 v6, v6, v9, v11
	s_mov_b32 vcc_lo, s1
	v_div_fixup_f32 v2, v2, v1, v3
	v_div_fixup_f32 v5, v6, v1, v5
	v_div_fmas_f32 v6, v7, v10, v17
	v_mul_f32_e32 v2, 0x437f8000, v2
	v_mul_f32_e32 v3, 0x437f8000, v5
	v_div_fixup_f32 v1, v6, v1, v4
	v_cvt_i32_f32_e32 v2, v2
	v_ashrrev_i32_e32 v4, 31, v0
	v_add_co_u32 v0, vcc_lo, s4, v0
	v_cvt_i32_f32_e32 v3, v3
	v_mul_f32_e32 v1, 0x437f8000, v1
	v_med3_i32 v2, v2, 0, 0xff
	v_med3_i32 v3, v3, 0, 0xff
	v_cvt_i32_f32_e32 v5, v1
	v_add_co_ci_u32_e64 v1, null, s5, v4, vcc_lo
	v_lshlrev_b16 v3, 8, v3
	v_med3_i32 v4, v5, 0, 0xff
	v_or_b32_sdwa v2, v2, v3 dst_sel:DWORD dst_unused:UNUSED_PAD src0_sel:BYTE_0 src1_sel:DWORD
	global_store_byte v[0:1], v4, off offset:2
	global_store_short v[0:1], v2, off
.LBB0_64:
	s_endpgm
	.section	.rodata,"a",@progbits
	.p2align	6, 0x0
	.amdhsa_kernel _Z13render_kernelPhPK7_Sphere6_Planeiii
		.amdhsa_group_segment_fixed_size 0
		.amdhsa_private_segment_fixed_size 0
		.amdhsa_kernarg_size 312
		.amdhsa_user_sgpr_count 6
		.amdhsa_user_sgpr_private_segment_buffer 1
		.amdhsa_user_sgpr_dispatch_ptr 0
		.amdhsa_user_sgpr_queue_ptr 0
		.amdhsa_user_sgpr_kernarg_segment_ptr 1
		.amdhsa_user_sgpr_dispatch_id 0
		.amdhsa_user_sgpr_flat_scratch_init 0
		.amdhsa_user_sgpr_private_segment_size 0
		.amdhsa_wavefront_size32 1
		.amdhsa_uses_dynamic_stack 0
		.amdhsa_system_sgpr_private_segment_wavefront_offset 0
		.amdhsa_system_sgpr_workgroup_id_x 1
		.amdhsa_system_sgpr_workgroup_id_y 1
		.amdhsa_system_sgpr_workgroup_id_z 0
		.amdhsa_system_sgpr_workgroup_info 0
		.amdhsa_system_vgpr_workitem_id 1
		.amdhsa_next_free_vgpr 71
		.amdhsa_next_free_sgpr 30
		.amdhsa_reserve_vcc 1
		.amdhsa_reserve_flat_scratch 0
		.amdhsa_float_round_mode_32 0
		.amdhsa_float_round_mode_16_64 0
		.amdhsa_float_denorm_mode_32 3
		.amdhsa_float_denorm_mode_16_64 3
		.amdhsa_dx10_clamp 1
		.amdhsa_ieee_mode 1
		.amdhsa_fp16_overflow 0
		.amdhsa_workgroup_processor_mode 1
		.amdhsa_memory_ordered 1
		.amdhsa_forward_progress 1
		.amdhsa_shared_vgpr_count 0
		.amdhsa_exception_fp_ieee_invalid_op 0
		.amdhsa_exception_fp_denorm_src 0
		.amdhsa_exception_fp_ieee_div_zero 0
		.amdhsa_exception_fp_ieee_overflow 0
		.amdhsa_exception_fp_ieee_underflow 0
		.amdhsa_exception_fp_ieee_inexact 0
		.amdhsa_exception_int_div_zero 0
	.end_amdhsa_kernel
	.text
.Lfunc_end0:
	.size	_Z13render_kernelPhPK7_Sphere6_Planeiii, .Lfunc_end0-_Z13render_kernelPhPK7_Sphere6_Planeiii
                                        ; -- End function
	.set _Z13render_kernelPhPK7_Sphere6_Planeiii.num_vgpr, 71
	.set _Z13render_kernelPhPK7_Sphere6_Planeiii.num_agpr, 0
	.set _Z13render_kernelPhPK7_Sphere6_Planeiii.numbered_sgpr, 30
	.set _Z13render_kernelPhPK7_Sphere6_Planeiii.num_named_barrier, 0
	.set _Z13render_kernelPhPK7_Sphere6_Planeiii.private_seg_size, 0
	.set _Z13render_kernelPhPK7_Sphere6_Planeiii.uses_vcc, 1
	.set _Z13render_kernelPhPK7_Sphere6_Planeiii.uses_flat_scratch, 0
	.set _Z13render_kernelPhPK7_Sphere6_Planeiii.has_dyn_sized_stack, 0
	.set _Z13render_kernelPhPK7_Sphere6_Planeiii.has_recursion, 0
	.set _Z13render_kernelPhPK7_Sphere6_Planeiii.has_indirect_call, 0
	.section	.AMDGPU.csdata,"",@progbits
; Kernel info:
; codeLenInByte = 7224
; TotalNumSgprs: 32
; NumVgprs: 71
; ScratchSize: 0
; MemoryBound: 0
; FloatMode: 240
; IeeeMode: 1
; LDSByteSize: 0 bytes/workgroup (compile time only)
; SGPRBlocks: 0
; VGPRBlocks: 8
; NumSGPRsForWavesPerEU: 32
; NumVGPRsForWavesPerEU: 71
; Occupancy: 12
; WaveLimiterHint : 0
; COMPUTE_PGM_RSRC2:SCRATCH_EN: 0
; COMPUTE_PGM_RSRC2:USER_SGPR: 6
; COMPUTE_PGM_RSRC2:TRAP_HANDLER: 0
; COMPUTE_PGM_RSRC2:TGID_X_EN: 1
; COMPUTE_PGM_RSRC2:TGID_Y_EN: 1
; COMPUTE_PGM_RSRC2:TGID_Z_EN: 0
; COMPUTE_PGM_RSRC2:TIDIG_COMP_CNT: 1
	.text
	.p2alignl 6, 3214868480
	.fill 48, 4, 3214868480
	.section	.AMDGPU.gpr_maximums,"",@progbits
	.set amdgpu.max_num_vgpr, 0
	.set amdgpu.max_num_agpr, 0
	.set amdgpu.max_num_sgpr, 0
	.text
	.type	__hip_cuid_5b2a9bdcfefbca4c,@object ; @__hip_cuid_5b2a9bdcfefbca4c
	.section	.bss,"aw",@nobits
	.globl	__hip_cuid_5b2a9bdcfefbca4c
__hip_cuid_5b2a9bdcfefbca4c:
	.byte	0                               ; 0x0
	.size	__hip_cuid_5b2a9bdcfefbca4c, 1

	.ident	"AMD clang version 22.0.0git (https://github.com/RadeonOpenCompute/llvm-project roc-7.2.4 26084 f58b06dce1f9c15707c5f808fd002e18c2accf7e)"
	.section	".note.GNU-stack","",@progbits
	.addrsig
	.addrsig_sym __hip_cuid_5b2a9bdcfefbca4c
	.amdgpu_metadata
---
amdhsa.kernels:
  - .args:
      - .address_space:  global
        .offset:         0
        .size:           8
        .value_kind:     global_buffer
      - .address_space:  global
        .offset:         8
        .size:           8
        .value_kind:     global_buffer
      - .offset:         16
        .size:           24
        .value_kind:     by_value
      - .offset:         40
        .size:           4
        .value_kind:     by_value
      - .offset:         44
        .size:           4
        .value_kind:     by_value
      - .offset:         48
        .size:           4
        .value_kind:     by_value
      - .offset:         56
        .size:           4
        .value_kind:     hidden_block_count_x
      - .offset:         60
        .size:           4
        .value_kind:     hidden_block_count_y
      - .offset:         64
        .size:           4
        .value_kind:     hidden_block_count_z
      - .offset:         68
        .size:           2
        .value_kind:     hidden_group_size_x
      - .offset:         70
        .size:           2
        .value_kind:     hidden_group_size_y
      - .offset:         72
        .size:           2
        .value_kind:     hidden_group_size_z
      - .offset:         74
        .size:           2
        .value_kind:     hidden_remainder_x
      - .offset:         76
        .size:           2
        .value_kind:     hidden_remainder_y
      - .offset:         78
        .size:           2
        .value_kind:     hidden_remainder_z
      - .offset:         96
        .size:           8
        .value_kind:     hidden_global_offset_x
      - .offset:         104
        .size:           8
        .value_kind:     hidden_global_offset_y
      - .offset:         112
        .size:           8
        .value_kind:     hidden_global_offset_z
      - .offset:         120
        .size:           2
        .value_kind:     hidden_grid_dims
    .group_segment_fixed_size: 0
    .kernarg_segment_align: 8
    .kernarg_segment_size: 312
    .language:       OpenCL C
    .language_version:
      - 2
      - 0
    .max_flat_workgroup_size: 1024
    .name:           _Z13render_kernelPhPK7_Sphere6_Planeiii
    .private_segment_fixed_size: 0
    .sgpr_count:     32
    .sgpr_spill_count: 0
    .symbol:         _Z13render_kernelPhPK7_Sphere6_Planeiii.kd
    .uniform_work_group_size: 1
    .uses_dynamic_stack: false
    .vgpr_count:     71
    .vgpr_spill_count: 0
    .wavefront_size: 32
    .workgroup_processor_mode: 1
amdhsa.target:   amdgcn-amd-amdhsa--gfx1030
amdhsa.version:
  - 1
  - 2
...

	.end_amdgpu_metadata
